;; amdgpu-corpus repo=ROCm/rocFFT kind=compiled arch=gfx906 opt=O3
	.text
	.amdgcn_target "amdgcn-amd-amdhsa--gfx906"
	.amdhsa_code_object_version 6
	.protected	fft_rtc_fwd_len1800_factors_10_6_10_3_wgs_180_tpt_180_halfLds_sp_op_CI_CI_sbrr_dirReg ; -- Begin function fft_rtc_fwd_len1800_factors_10_6_10_3_wgs_180_tpt_180_halfLds_sp_op_CI_CI_sbrr_dirReg
	.globl	fft_rtc_fwd_len1800_factors_10_6_10_3_wgs_180_tpt_180_halfLds_sp_op_CI_CI_sbrr_dirReg
	.p2align	8
	.type	fft_rtc_fwd_len1800_factors_10_6_10_3_wgs_180_tpt_180_halfLds_sp_op_CI_CI_sbrr_dirReg,@function
fft_rtc_fwd_len1800_factors_10_6_10_3_wgs_180_tpt_180_halfLds_sp_op_CI_CI_sbrr_dirReg: ; @fft_rtc_fwd_len1800_factors_10_6_10_3_wgs_180_tpt_180_halfLds_sp_op_CI_CI_sbrr_dirReg
; %bb.0:
	s_load_dwordx4 s[16:19], s[4:5], 0x18
	s_load_dwordx4 s[8:11], s[4:5], 0x0
	;; [unrolled: 1-line block ×3, first 2 shown]
	v_mul_u32_u24_e32 v1, 0x16d, v0
	v_mov_b32_e32 v7, 0
	s_waitcnt lgkmcnt(0)
	s_load_dwordx2 s[20:21], s[16:17], 0x0
	s_load_dwordx2 s[2:3], s[18:19], 0x0
	v_cmp_lt_u64_e64 s[0:1], s[10:11], 2
	v_mov_b32_e32 v5, 0
	v_add_u32_sdwa v9, s6, v1 dst_sel:DWORD dst_unused:UNUSED_PAD src0_sel:DWORD src1_sel:WORD_1
	v_mov_b32_e32 v10, v7
	s_and_b64 vcc, exec, s[0:1]
	v_mov_b32_e32 v6, 0
	s_cbranch_vccnz .LBB0_8
; %bb.1:
	s_load_dwordx2 s[0:1], s[4:5], 0x10
	s_add_u32 s6, s18, 8
	s_addc_u32 s7, s19, 0
	s_add_u32 s22, s16, 8
	s_addc_u32 s23, s17, 0
	v_mov_b32_e32 v5, 0
	s_waitcnt lgkmcnt(0)
	s_add_u32 s24, s0, 8
	v_mov_b32_e32 v6, 0
	v_mov_b32_e32 v1, v5
	s_addc_u32 s25, s1, 0
	s_mov_b64 s[26:27], 1
	v_mov_b32_e32 v2, v6
.LBB0_2:                                ; =>This Inner Loop Header: Depth=1
	s_load_dwordx2 s[28:29], s[24:25], 0x0
                                        ; implicit-def: $vgpr3_vgpr4
	s_waitcnt lgkmcnt(0)
	v_or_b32_e32 v8, s29, v10
	v_cmp_ne_u64_e32 vcc, 0, v[7:8]
	s_and_saveexec_b64 s[0:1], vcc
	s_xor_b64 s[30:31], exec, s[0:1]
	s_cbranch_execz .LBB0_4
; %bb.3:                                ;   in Loop: Header=BB0_2 Depth=1
	v_cvt_f32_u32_e32 v3, s28
	v_cvt_f32_u32_e32 v4, s29
	s_sub_u32 s0, 0, s28
	s_subb_u32 s1, 0, s29
	v_mac_f32_e32 v3, 0x4f800000, v4
	v_rcp_f32_e32 v3, v3
	v_mul_f32_e32 v3, 0x5f7ffffc, v3
	v_mul_f32_e32 v4, 0x2f800000, v3
	v_trunc_f32_e32 v4, v4
	v_mac_f32_e32 v3, 0xcf800000, v4
	v_cvt_u32_f32_e32 v4, v4
	v_cvt_u32_f32_e32 v3, v3
	v_mul_lo_u32 v8, s0, v4
	v_mul_hi_u32 v11, s0, v3
	v_mul_lo_u32 v13, s1, v3
	v_mul_lo_u32 v12, s0, v3
	v_add_u32_e32 v8, v11, v8
	v_add_u32_e32 v8, v8, v13
	v_mul_hi_u32 v11, v3, v12
	v_mul_lo_u32 v13, v3, v8
	v_mul_hi_u32 v15, v3, v8
	v_mul_hi_u32 v14, v4, v12
	v_mul_lo_u32 v12, v4, v12
	v_mul_hi_u32 v16, v4, v8
	v_add_co_u32_e32 v11, vcc, v11, v13
	v_addc_co_u32_e32 v13, vcc, 0, v15, vcc
	v_mul_lo_u32 v8, v4, v8
	v_add_co_u32_e32 v11, vcc, v11, v12
	v_addc_co_u32_e32 v11, vcc, v13, v14, vcc
	v_addc_co_u32_e32 v12, vcc, 0, v16, vcc
	v_add_co_u32_e32 v8, vcc, v11, v8
	v_addc_co_u32_e32 v11, vcc, 0, v12, vcc
	v_add_co_u32_e32 v3, vcc, v3, v8
	v_addc_co_u32_e32 v4, vcc, v4, v11, vcc
	v_mul_lo_u32 v8, s0, v4
	v_mul_hi_u32 v11, s0, v3
	v_mul_lo_u32 v12, s1, v3
	v_mul_lo_u32 v13, s0, v3
	v_add_u32_e32 v8, v11, v8
	v_add_u32_e32 v8, v8, v12
	v_mul_lo_u32 v14, v3, v8
	v_mul_hi_u32 v15, v3, v13
	v_mul_hi_u32 v16, v3, v8
	;; [unrolled: 1-line block ×3, first 2 shown]
	v_mul_lo_u32 v13, v4, v13
	v_mul_hi_u32 v11, v4, v8
	v_add_co_u32_e32 v14, vcc, v15, v14
	v_addc_co_u32_e32 v15, vcc, 0, v16, vcc
	v_mul_lo_u32 v8, v4, v8
	v_add_co_u32_e32 v13, vcc, v14, v13
	v_addc_co_u32_e32 v12, vcc, v15, v12, vcc
	v_addc_co_u32_e32 v11, vcc, 0, v11, vcc
	v_add_co_u32_e32 v8, vcc, v12, v8
	v_addc_co_u32_e32 v11, vcc, 0, v11, vcc
	v_add_co_u32_e32 v8, vcc, v3, v8
	v_addc_co_u32_e32 v11, vcc, v4, v11, vcc
	v_mad_u64_u32 v[3:4], s[0:1], v9, v11, 0
	v_mul_hi_u32 v12, v9, v8
	v_add_co_u32_e32 v13, vcc, v12, v3
	v_addc_co_u32_e32 v14, vcc, 0, v4, vcc
	v_mad_u64_u32 v[3:4], s[0:1], v10, v8, 0
	v_mad_u64_u32 v[11:12], s[0:1], v10, v11, 0
	v_add_co_u32_e32 v3, vcc, v13, v3
	v_addc_co_u32_e32 v3, vcc, v14, v4, vcc
	v_addc_co_u32_e32 v4, vcc, 0, v12, vcc
	v_add_co_u32_e32 v8, vcc, v3, v11
	v_addc_co_u32_e32 v11, vcc, 0, v4, vcc
	v_mul_lo_u32 v12, s29, v8
	v_mul_lo_u32 v13, s28, v11
	v_mad_u64_u32 v[3:4], s[0:1], s28, v8, 0
	v_add3_u32 v4, v4, v13, v12
	v_sub_u32_e32 v12, v10, v4
	v_mov_b32_e32 v13, s29
	v_sub_co_u32_e32 v3, vcc, v9, v3
	v_subb_co_u32_e64 v12, s[0:1], v12, v13, vcc
	v_subrev_co_u32_e64 v13, s[0:1], s28, v3
	v_subbrev_co_u32_e64 v12, s[0:1], 0, v12, s[0:1]
	v_cmp_le_u32_e64 s[0:1], s29, v12
	v_cndmask_b32_e64 v14, 0, -1, s[0:1]
	v_cmp_le_u32_e64 s[0:1], s28, v13
	v_cndmask_b32_e64 v13, 0, -1, s[0:1]
	v_cmp_eq_u32_e64 s[0:1], s29, v12
	v_cndmask_b32_e64 v12, v14, v13, s[0:1]
	v_add_co_u32_e64 v13, s[0:1], 2, v8
	v_addc_co_u32_e64 v14, s[0:1], 0, v11, s[0:1]
	v_add_co_u32_e64 v15, s[0:1], 1, v8
	v_addc_co_u32_e64 v16, s[0:1], 0, v11, s[0:1]
	v_subb_co_u32_e32 v4, vcc, v10, v4, vcc
	v_cmp_ne_u32_e64 s[0:1], 0, v12
	v_cmp_le_u32_e32 vcc, s29, v4
	v_cndmask_b32_e64 v12, v16, v14, s[0:1]
	v_cndmask_b32_e64 v14, 0, -1, vcc
	v_cmp_le_u32_e32 vcc, s28, v3
	v_cndmask_b32_e64 v3, 0, -1, vcc
	v_cmp_eq_u32_e32 vcc, s29, v4
	v_cndmask_b32_e32 v3, v14, v3, vcc
	v_cmp_ne_u32_e32 vcc, 0, v3
	v_cndmask_b32_e64 v3, v15, v13, s[0:1]
	v_cndmask_b32_e32 v4, v11, v12, vcc
	v_cndmask_b32_e32 v3, v8, v3, vcc
.LBB0_4:                                ;   in Loop: Header=BB0_2 Depth=1
	s_andn2_saveexec_b64 s[0:1], s[30:31]
	s_cbranch_execz .LBB0_6
; %bb.5:                                ;   in Loop: Header=BB0_2 Depth=1
	v_cvt_f32_u32_e32 v3, s28
	s_sub_i32 s30, 0, s28
	v_rcp_iflag_f32_e32 v3, v3
	v_mul_f32_e32 v3, 0x4f7ffffe, v3
	v_cvt_u32_f32_e32 v3, v3
	v_mul_lo_u32 v4, s30, v3
	v_mul_hi_u32 v4, v3, v4
	v_add_u32_e32 v3, v3, v4
	v_mul_hi_u32 v3, v9, v3
	v_mul_lo_u32 v4, v3, s28
	v_add_u32_e32 v8, 1, v3
	v_sub_u32_e32 v4, v9, v4
	v_subrev_u32_e32 v11, s28, v4
	v_cmp_le_u32_e32 vcc, s28, v4
	v_cndmask_b32_e32 v4, v4, v11, vcc
	v_cndmask_b32_e32 v3, v3, v8, vcc
	v_add_u32_e32 v8, 1, v3
	v_cmp_le_u32_e32 vcc, s28, v4
	v_cndmask_b32_e32 v3, v3, v8, vcc
	v_mov_b32_e32 v4, v7
.LBB0_6:                                ;   in Loop: Header=BB0_2 Depth=1
	s_or_b64 exec, exec, s[0:1]
	v_mul_lo_u32 v8, v4, s28
	v_mul_lo_u32 v13, v3, s29
	v_mad_u64_u32 v[11:12], s[0:1], v3, s28, 0
	s_load_dwordx2 s[0:1], s[22:23], 0x0
	s_load_dwordx2 s[28:29], s[6:7], 0x0
	v_add3_u32 v8, v12, v13, v8
	v_sub_co_u32_e32 v9, vcc, v9, v11
	v_subb_co_u32_e32 v8, vcc, v10, v8, vcc
	s_waitcnt lgkmcnt(0)
	v_mul_lo_u32 v10, s0, v8
	v_mul_lo_u32 v11, s1, v9
	v_mad_u64_u32 v[5:6], s[0:1], s0, v9, v[5:6]
	v_mul_lo_u32 v8, s28, v8
	v_mul_lo_u32 v12, s29, v9
	v_mad_u64_u32 v[1:2], s[0:1], s28, v9, v[1:2]
	s_add_u32 s26, s26, 1
	s_addc_u32 s27, s27, 0
	s_add_u32 s6, s6, 8
	v_add3_u32 v2, v12, v2, v8
	s_addc_u32 s7, s7, 0
	v_mov_b32_e32 v8, s10
	s_add_u32 s22, s22, 8
	v_mov_b32_e32 v9, s11
	s_addc_u32 s23, s23, 0
	v_cmp_ge_u64_e32 vcc, s[26:27], v[8:9]
	s_add_u32 s24, s24, 8
	v_add3_u32 v6, v11, v6, v10
	s_addc_u32 s25, s25, 0
	s_cbranch_vccnz .LBB0_9
; %bb.7:                                ;   in Loop: Header=BB0_2 Depth=1
	v_mov_b32_e32 v10, v4
	v_mov_b32_e32 v9, v3
	s_branch .LBB0_2
.LBB0_8:
	v_mov_b32_e32 v1, v5
	v_mov_b32_e32 v3, v9
	;; [unrolled: 1-line block ×4, first 2 shown]
.LBB0_9:
	s_load_dwordx2 s[0:1], s[4:5], 0x28
	s_lshl_b64 s[10:11], s[10:11], 3
	s_add_u32 s4, s18, s10
	s_addc_u32 s5, s19, s11
                                        ; implicit-def: $vgpr29
                                        ; implicit-def: $vgpr30
	s_waitcnt lgkmcnt(0)
	v_cmp_gt_u64_e32 vcc, s[0:1], v[3:4]
	v_cmp_le_u64_e64 s[0:1], s[0:1], v[3:4]
	s_and_saveexec_b64 s[6:7], s[0:1]
	s_xor_b64 s[0:1], exec, s[6:7]
; %bb.10:
	s_mov_b32 s6, 0x16c16c2
	v_mul_hi_u32 v5, v0, s6
	v_mul_u32_u24_e32 v5, 0xb4, v5
	v_sub_u32_e32 v29, v0, v5
	v_add_u32_e32 v30, 0xb4, v29
                                        ; implicit-def: $vgpr0
                                        ; implicit-def: $vgpr5_vgpr6
; %bb.11:
	s_or_saveexec_b64 s[6:7], s[0:1]
                                        ; implicit-def: $vgpr16
                                        ; implicit-def: $vgpr22
                                        ; implicit-def: $vgpr12
                                        ; implicit-def: $vgpr20
                                        ; implicit-def: $vgpr14
                                        ; implicit-def: $vgpr26
                                        ; implicit-def: $vgpr18
                                        ; implicit-def: $vgpr24
                                        ; implicit-def: $vgpr10
                                        ; implicit-def: $vgpr8
	s_xor_b64 exec, exec, s[6:7]
	s_cbranch_execz .LBB0_13
; %bb.12:
	s_add_u32 s0, s16, s10
	s_mov_b32 s10, 0x16c16c2
	v_mul_hi_u32 v7, v0, s10
	s_addc_u32 s1, s17, s11
	s_load_dwordx2 s[0:1], s[0:1], 0x0
	v_lshlrev_b64 v[5:6], 3, v[5:6]
	v_mul_u32_u24_e32 v7, 0xb4, v7
	v_sub_u32_e32 v29, v0, v7
	v_mad_u64_u32 v[7:8], s[10:11], s20, v29, 0
	s_waitcnt lgkmcnt(0)
	v_mul_lo_u32 v13, s1, v3
	v_mul_lo_u32 v14, s0, v4
	v_mad_u64_u32 v[9:10], s[0:1], s0, v3, 0
	v_mov_b32_e32 v0, v8
	v_mad_u64_u32 v[11:12], s[0:1], s21, v29, v[0:1]
	v_add3_u32 v10, v10, v14, v13
	v_lshlrev_b64 v[9:10], 3, v[9:10]
	v_mov_b32_e32 v8, v11
	v_mov_b32_e32 v0, s13
	v_add_co_u32_e64 v11, s[0:1], s12, v9
	v_add_u32_e32 v30, 0xb4, v29
	v_addc_co_u32_e64 v0, s[0:1], v0, v10, s[0:1]
	v_mad_u64_u32 v[9:10], s[0:1], s20, v30, 0
	v_add_co_u32_e64 v15, s[0:1], v11, v5
	v_addc_co_u32_e64 v16, s[0:1], v0, v6, s[0:1]
	v_mov_b32_e32 v0, v10
	v_add_u32_e32 v13, 0x168, v29
	v_lshlrev_b64 v[5:6], 3, v[7:8]
	v_mad_u64_u32 v[7:8], s[0:1], s21, v30, v[0:1]
	v_mad_u64_u32 v[11:12], s[0:1], s20, v13, 0
	v_add_co_u32_e64 v5, s[0:1], v15, v5
	v_mov_b32_e32 v10, v7
	v_mov_b32_e32 v0, v12
	v_addc_co_u32_e64 v6, s[0:1], v16, v6, s[0:1]
	v_lshlrev_b64 v[7:8], 3, v[9:10]
	v_mad_u64_u32 v[9:10], s[0:1], s21, v13, v[0:1]
	v_add_u32_e32 v10, 0x21c, v29
	v_mad_u64_u32 v[13:14], s[0:1], s20, v10, 0
	v_add_co_u32_e64 v27, s[0:1], v15, v7
	v_mov_b32_e32 v12, v9
	v_mov_b32_e32 v0, v14
	v_addc_co_u32_e64 v28, s[0:1], v16, v8, s[0:1]
	v_lshlrev_b64 v[7:8], 3, v[11:12]
	v_mad_u64_u32 v[9:10], s[0:1], s21, v10, v[0:1]
	v_add_u32_e32 v12, 0x2d0, v29
	v_mad_u64_u32 v[10:11], s[0:1], s20, v12, 0
	v_add_co_u32_e64 v31, s[0:1], v15, v7
	v_mov_b32_e32 v0, v11
	v_addc_co_u32_e64 v32, s[0:1], v16, v8, s[0:1]
	v_mov_b32_e32 v14, v9
	v_mad_u64_u32 v[11:12], s[0:1], s21, v12, v[0:1]
	v_add_u32_e32 v9, 0x384, v29
	v_lshlrev_b64 v[7:8], 3, v[13:14]
	v_mad_u64_u32 v[12:13], s[0:1], s20, v9, 0
	v_add_co_u32_e64 v33, s[0:1], v15, v7
	v_mov_b32_e32 v0, v13
	v_addc_co_u32_e64 v34, s[0:1], v16, v8, s[0:1]
	v_lshlrev_b64 v[7:8], 3, v[10:11]
	v_mad_u64_u32 v[9:10], s[0:1], s21, v9, v[0:1]
	v_add_u32_e32 v14, 0x438, v29
	v_mad_u64_u32 v[10:11], s[0:1], s20, v14, 0
	v_add_co_u32_e64 v35, s[0:1], v15, v7
	v_mov_b32_e32 v13, v9
	v_mov_b32_e32 v0, v11
	v_addc_co_u32_e64 v36, s[0:1], v16, v8, s[0:1]
	v_lshlrev_b64 v[7:8], 3, v[12:13]
	v_mad_u64_u32 v[11:12], s[0:1], s21, v14, v[0:1]
	v_add_u32_e32 v9, 0x4ec, v29
	v_mad_u64_u32 v[12:13], s[0:1], s20, v9, 0
	v_add_co_u32_e64 v37, s[0:1], v15, v7
	v_mov_b32_e32 v0, v13
	v_addc_co_u32_e64 v38, s[0:1], v16, v8, s[0:1]
	v_lshlrev_b64 v[7:8], 3, v[10:11]
	v_mad_u64_u32 v[9:10], s[0:1], s21, v9, v[0:1]
	v_add_u32_e32 v14, 0x5a0, v29
	v_mad_u64_u32 v[10:11], s[0:1], s20, v14, 0
	v_add_co_u32_e64 v39, s[0:1], v15, v7
	v_mov_b32_e32 v13, v9
	v_mov_b32_e32 v0, v11
	v_addc_co_u32_e64 v40, s[0:1], v16, v8, s[0:1]
	v_lshlrev_b64 v[7:8], 3, v[12:13]
	v_mad_u64_u32 v[11:12], s[0:1], s21, v14, v[0:1]
	v_add_u32_e32 v9, 0x654, v29
	v_mad_u64_u32 v[12:13], s[0:1], s20, v9, 0
	v_add_co_u32_e64 v41, s[0:1], v15, v7
	v_mov_b32_e32 v0, v13
	v_addc_co_u32_e64 v42, s[0:1], v16, v8, s[0:1]
	v_lshlrev_b64 v[7:8], 3, v[10:11]
	v_mad_u64_u32 v[9:10], s[0:1], s21, v9, v[0:1]
	v_add_co_u32_e64 v43, s[0:1], v15, v7
	v_mov_b32_e32 v13, v9
	v_addc_co_u32_e64 v44, s[0:1], v16, v8, s[0:1]
	v_lshlrev_b64 v[7:8], 3, v[12:13]
	v_add_co_u32_e64 v45, s[0:1], v15, v7
	v_addc_co_u32_e64 v46, s[0:1], v16, v8, s[0:1]
	global_load_dwordx2 v[7:8], v[5:6], off
	global_load_dwordx2 v[9:10], v[27:28], off
	;; [unrolled: 1-line block ×10, first 2 shown]
.LBB0_13:
	s_or_b64 exec, exec, s[6:7]
	s_waitcnt vmcnt(3)
	v_add_f32_e32 v5, v19, v25
	v_fma_f32 v31, -0.5, v5, v7
	v_sub_f32_e32 v5, v23, v25
	s_waitcnt vmcnt(1)
	v_sub_f32_e32 v6, v21, v19
	v_add_f32_e32 v34, v6, v5
	v_add_f32_e32 v5, v21, v23
	;; [unrolled: 1-line block ×3, first 2 shown]
	v_fmac_f32_e32 v7, -0.5, v5
	v_sub_f32_e32 v32, v26, v20
	v_mov_b32_e32 v35, v7
	v_sub_f32_e32 v5, v25, v23
	v_sub_f32_e32 v6, v19, v21
	v_fmac_f32_e32 v35, 0xbf737871, v32
	v_sub_f32_e32 v36, v24, v22
	v_fmac_f32_e32 v7, 0x3f737871, v32
	v_add_f32_e32 v5, v6, v5
	v_fmac_f32_e32 v35, 0x3f167918, v36
	v_fmac_f32_e32 v7, 0xbf167918, v36
	;; [unrolled: 1-line block ×4, first 2 shown]
	v_sub_f32_e32 v5, v17, v13
	s_waitcnt vmcnt(0)
	v_sub_f32_e32 v6, v15, v11
	v_add_f32_e32 v38, v6, v5
	v_add_f32_e32 v5, v11, v13
	;; [unrolled: 1-line block ×3, first 2 shown]
	v_fma_f32 v33, -0.5, v5, v9
	v_add_f32_e32 v5, v17, v9
	v_fmac_f32_e32 v9, -0.5, v6
	v_sub_f32_e32 v44, v14, v12
	v_mov_b32_e32 v37, v9
	v_sub_f32_e32 v6, v13, v17
	v_sub_f32_e32 v27, v11, v15
	v_fmac_f32_e32 v37, 0xbf737871, v44
	v_sub_f32_e32 v45, v18, v16
	v_fmac_f32_e32 v9, 0x3f737871, v44
	v_add_f32_e32 v6, v27, v6
	v_fmac_f32_e32 v37, 0x3f167918, v45
	v_fmac_f32_e32 v9, 0xbf167918, v45
	v_fmac_f32_e32 v37, 0x3e9e377a, v6
	v_fmac_f32_e32 v9, 0x3e9e377a, v6
	v_sub_f32_e32 v6, v18, v14
	v_sub_f32_e32 v27, v16, v12
	v_add_f32_e32 v5, v13, v5
	v_add_f32_e32 v46, v27, v6
	v_sub_f32_e32 v6, v14, v18
	v_sub_f32_e32 v27, v12, v16
	v_add_f32_e32 v5, v11, v5
	v_add_f32_e32 v6, v27, v6
	;; [unrolled: 1-line block ×3, first 2 shown]
	v_sub_f32_e32 v47, v13, v11
	v_add_f32_e32 v13, v15, v5
	v_add_f32_e32 v5, v12, v14
	v_fma_f32 v39, -0.5, v27, v10
	v_mov_b32_e32 v42, v33
	v_fma_f32 v11, -0.5, v5, v10
	v_mov_b32_e32 v40, v39
	v_sub_f32_e32 v17, v17, v15
	v_fmac_f32_e32 v42, 0x3f737871, v45
	v_mov_b32_e32 v43, v11
	v_fmac_f32_e32 v40, 0x3f737871, v47
	v_fmac_f32_e32 v39, 0xbf737871, v47
	v_mov_b32_e32 v48, v31
	v_fmac_f32_e32 v42, 0x3f167918, v44
	v_fmac_f32_e32 v43, 0xbf737871, v17
	;; [unrolled: 1-line block ×4, first 2 shown]
	v_add_f32_e32 v0, v25, v0
	v_fmac_f32_e32 v48, 0x3f737871, v36
	v_fmac_f32_e32 v42, 0x3e9e377a, v38
	;; [unrolled: 1-line block ×5, first 2 shown]
	v_add_f32_e32 v0, v19, v0
	s_mov_b32 s0, 0x3f737871
	v_fmac_f32_e32 v48, 0x3f167918, v32
	v_fmac_f32_e32 v43, 0x3e9e377a, v46
	v_mul_f32_e32 v15, 0x3f4f1bbd, v42
	v_mul_f32_e32 v49, 0x3e9e377a, v37
	;; [unrolled: 1-line block ×3, first 2 shown]
	v_fmac_f32_e32 v33, 0xbf737871, v45
	v_add_f32_e32 v0, v21, v0
	v_fmac_f32_e32 v48, 0x3e9e377a, v34
	v_fmac_f32_e32 v15, 0x3f167918, v43
	;; [unrolled: 1-line block ×3, first 2 shown]
	v_fma_f32 v50, v39, s0, -v27
	v_mul_u32_u24_e32 v41, 10, v29
	v_fmac_f32_e32 v33, 0xbf167918, v44
	v_fmac_f32_e32 v11, 0x3f737871, v17
	v_add_f32_e32 v5, v13, v0
	v_add_f32_e32 v6, v48, v15
	;; [unrolled: 1-line block ×4, first 2 shown]
	v_lshl_add_u32 v41, v41, 2, 0
	v_fmac_f32_e32 v31, 0xbf737871, v36
	v_fmac_f32_e32 v33, 0x3e9e377a, v38
	v_fmac_f32_e32 v11, 0x3f167918, v47
	ds_write2_b64 v41, v[5:6], v[27:28] offset1:1
	v_sub_f32_e32 v5, v48, v15
	v_fmac_f32_e32 v31, 0xbf167918, v32
	v_fmac_f32_e32 v11, 0x3e9e377a, v46
	s_mov_b32 s0, 0x3f167918
	v_mul_f32_e32 v15, 0x3f4f1bbd, v33
	v_fmac_f32_e32 v31, 0x3e9e377a, v34
	v_fma_f32 v15, v11, s0, -v15
	v_sub_f32_e32 v6, v35, v49
	v_sub_f32_e32 v28, v0, v13
	v_add_f32_e32 v27, v31, v15
	s_movk_i32 s0, 0xffdc
	ds_write2_b64 v41, v[27:28], v[5:6] offset0:2 offset1:3
	v_sub_f32_e32 v28, v31, v15
	v_sub_f32_e32 v27, v7, v50
	v_mad_i32_i24 v7, v29, s0, v41
	s_load_dwordx2 s[4:5], s[4:5], 0x0
	ds_write_b64 v41, v[27:28] offset:32
	s_waitcnt lgkmcnt(0)
	s_barrier
	ds_read_b32 v0, v7
	ds_read_b32 v38, v7 offset:1200
	ds_read_b32 v36, v7 offset:2400
	;; [unrolled: 1-line block ×5, first 2 shown]
	s_movk_i32 s0, 0x78
	v_mul_i32_i24_e32 v7, 0xffffffdc, v29
	s_mov_b32 s11, 0xbf737871
	s_mov_b32 s10, 0xbf167918
	v_cmp_gt_u32_e64 s[0:1], s0, v29
	v_add_u32_e32 v31, v41, v7
	v_lshl_add_u32 v32, v30, 2, 0
                                        ; implicit-def: $vgpr17
                                        ; implicit-def: $vgpr35
	s_and_saveexec_b64 s[6:7], s[0:1]
	s_cbranch_execz .LBB0_15
; %bb.14:
	ds_read_b32 v6, v31 offset:1920
	ds_read_b32 v27, v31 offset:3120
	;; [unrolled: 1-line block ×4, first 2 shown]
	ds_read_b32 v5, v32
	ds_read_b32 v17, v31 offset:6720
.LBB0_15:
	s_or_b64 exec, exec, s[6:7]
	v_add_f32_e32 v44, v20, v26
	v_fma_f32 v44, -0.5, v44, v8
	v_sub_f32_e32 v21, v23, v21
	v_mov_b32_e32 v23, v44
	v_fmac_f32_e32 v23, 0xbf737871, v21
	v_sub_f32_e32 v19, v25, v19
	v_sub_f32_e32 v25, v24, v26
	;; [unrolled: 1-line block ×3, first 2 shown]
	v_fmac_f32_e32 v44, 0x3f737871, v21
	v_fmac_f32_e32 v23, 0xbf167918, v19
	v_add_f32_e32 v25, v45, v25
	v_fmac_f32_e32 v44, 0x3f167918, v19
	v_fmac_f32_e32 v23, 0x3e9e377a, v25
	;; [unrolled: 1-line block ×3, first 2 shown]
	v_add_f32_e32 v25, v22, v24
	v_add_f32_e32 v7, v24, v8
	v_fmac_f32_e32 v8, -0.5, v25
	v_add_f32_e32 v10, v18, v10
	v_add_f32_e32 v7, v26, v7
	v_mov_b32_e32 v25, v8
	v_add_f32_e32 v10, v14, v10
	v_add_f32_e32 v7, v20, v7
	v_fmac_f32_e32 v25, 0x3f737871, v19
	v_sub_f32_e32 v24, v26, v24
	v_sub_f32_e32 v20, v20, v22
	v_fmac_f32_e32 v8, 0xbf737871, v19
	v_add_f32_e32 v10, v12, v10
	v_mul_f32_e32 v12, 0x3e9e377a, v39
	v_add_f32_e32 v7, v22, v7
	v_fmac_f32_e32 v25, 0xbf167918, v21
	v_add_f32_e32 v20, v20, v24
	v_fmac_f32_e32 v8, 0x3f167918, v21
	v_add_f32_e32 v10, v16, v10
	v_mul_f32_e32 v14, 0xbf167918, v42
	v_mul_f32_e32 v16, 0xbf737871, v37
	v_fma_f32 v22, v9, s11, -v12
	v_mul_f32_e32 v9, 0x3f4f1bbd, v11
	v_fmac_f32_e32 v25, 0x3e9e377a, v20
	v_fmac_f32_e32 v8, 0x3e9e377a, v20
	v_fmac_f32_e32 v14, 0x3f4f1bbd, v43
	v_fmac_f32_e32 v16, 0x3e9e377a, v40
	v_fma_f32 v24, v33, s10, -v9
	v_add_f32_e32 v18, v10, v7
	v_add_f32_e32 v19, v23, v14
	;; [unrolled: 1-line block ×5, first 2 shown]
	v_sub_f32_e32 v12, v7, v10
	v_sub_f32_e32 v9, v23, v14
	;; [unrolled: 1-line block ×5, first 2 shown]
	s_waitcnt lgkmcnt(0)
	s_barrier
	ds_write2_b64 v41, v[18:19], v[20:21] offset1:1
	ds_write2_b64 v41, v[11:12], v[9:10] offset0:2 offset1:3
	ds_write_b64 v41, v[7:8] offset:32
	s_waitcnt lgkmcnt(0)
	s_barrier
	ds_read_b32 v11, v31
	ds_read_b32 v18, v31 offset:1200
	ds_read_b32 v19, v31 offset:2400
	;; [unrolled: 1-line block ×5, first 2 shown]
                                        ; implicit-def: $vgpr21
                                        ; implicit-def: $vgpr37
	s_and_saveexec_b64 s[6:7], s[0:1]
	s_cbranch_execz .LBB0_17
; %bb.16:
	ds_read_b32 v10, v31 offset:1920
	ds_read_b32 v7, v31 offset:3120
	;; [unrolled: 1-line block ×4, first 2 shown]
	ds_read_b32 v9, v32
	ds_read_b32 v21, v31 offset:6720
.LBB0_17:
	s_or_b64 exec, exec, s[6:7]
	s_movk_i32 s6, 0xcd
	v_mul_lo_u16_sdwa v12, v29, s6 dst_sel:DWORD dst_unused:UNUSED_PAD src0_sel:BYTE_0 src1_sel:DWORD
	s_mov_b32 s6, 0xcccd
	v_lshrrev_b16_e32 v62, 11, v12
	v_mul_u32_u24_sdwa v14, v30, s6 dst_sel:DWORD dst_unused:UNUSED_PAD src0_sel:WORD_0 src1_sel:DWORD
	v_mul_lo_u16_e32 v12, 10, v62
	v_lshrrev_b32_e32 v64, 19, v14
	v_sub_u16_e32 v63, v29, v12
	v_mov_b32_e32 v12, 5
	v_mul_lo_u16_e32 v14, 10, v64
	v_mul_u32_u24_sdwa v12, v63, v12 dst_sel:DWORD dst_unused:UNUSED_PAD src0_sel:BYTE_0 src1_sel:DWORD
	v_sub_u16_e32 v65, v30, v14
	v_lshlrev_b32_e32 v12, 3, v12
	v_mul_u32_u24_e32 v14, 5, v65
	global_load_dwordx4 v[42:45], v12, s[8:9]
	global_load_dwordx4 v[46:49], v12, s[8:9] offset:16
	global_load_dwordx2 v[58:59], v12, s[8:9] offset:32
	v_lshlrev_b32_e32 v12, 3, v14
	global_load_dwordx4 v[50:53], v12, s[8:9]
	global_load_dwordx4 v[54:57], v12, s[8:9] offset:16
	global_load_dwordx2 v[60:61], v12, s[8:9] offset:32
	s_waitcnt vmcnt(0) lgkmcnt(0)
	s_barrier
	v_mul_f32_e32 v14, v18, v43
	v_mul_f32_e32 v12, v38, v43
	;; [unrolled: 1-line block ×10, first 2 shown]
	v_fma_f32 v14, v38, v42, -v14
	v_mul_f32_e32 v16, v6, v51
	v_fmac_f32_e32 v12, v18, v42
	v_fma_f32 v33, v36, v44, -v20
	v_mul_f32_e32 v18, v27, v53
	v_fmac_f32_e32 v24, v19, v44
	v_mul_f32_e32 v36, v8, v55
	v_mul_f32_e32 v19, v28, v55
	;; [unrolled: 1-line block ×4, first 2 shown]
	v_fma_f32 v34, v34, v46, -v25
	v_fmac_f32_e32 v22, v41, v46
	v_fmac_f32_e32 v26, v40, v48
	v_fma_f32 v40, v13, v58, -v45
	v_fmac_f32_e32 v23, v39, v58
	v_mul_f32_e32 v47, v10, v51
	v_mul_f32_e32 v38, v7, v53
	;; [unrolled: 1-line block ×4, first 2 shown]
	v_fma_f32 v15, v15, v48, -v43
	v_fmac_f32_e32 v16, v10, v50
	v_fmac_f32_e32 v18, v7, v52
	v_fma_f32 v10, v28, v54, -v36
	v_fmac_f32_e32 v19, v8, v54
	v_fma_f32 v7, v35, v56, -v42
	v_fma_f32 v8, v17, v60, -v44
	v_add_f32_e32 v17, v0, v33
	v_add_f32_e32 v35, v34, v40
	v_add_f32_e32 v36, v22, v23
	v_fmac_f32_e32 v20, v37, v56
	v_fmac_f32_e32 v25, v21, v60
	v_add_f32_e32 v21, v33, v15
	v_add_f32_e32 v28, v14, v34
	v_sub_f32_e32 v37, v22, v23
	v_add_f32_e32 v42, v17, v15
	v_fmac_f32_e32 v14, -0.5, v35
	v_fma_f32 v17, -0.5, v36, v12
	v_sub_f32_e32 v34, v34, v40
	v_fmac_f32_e32 v0, -0.5, v21
	v_add_f32_e32 v21, v28, v40
	v_mov_b32_e32 v28, v14
	v_fmac_f32_e32 v14, 0xbf5db3d7, v37
	v_mov_b32_e32 v36, v17
	v_fma_f32 v13, v6, v50, -v47
	v_fma_f32 v6, v27, v52, -v38
	v_sub_f32_e32 v27, v24, v26
	v_mov_b32_e32 v35, v0
	v_fmac_f32_e32 v17, 0x3f5db3d7, v34
	v_add_f32_e32 v45, v42, v21
	v_sub_f32_e32 v46, v42, v21
	v_fmac_f32_e32 v36, 0xbf5db3d7, v34
	v_mul_f32_e32 v21, -0.5, v14
	v_fmac_f32_e32 v0, 0xbf5db3d7, v27
	v_fmac_f32_e32 v35, 0x3f5db3d7, v27
	;; [unrolled: 1-line block ×3, first 2 shown]
	v_mul_f32_e32 v27, 0x3f5db3d7, v36
	v_fmac_f32_e32 v21, 0x3f5db3d7, v17
	v_fmac_f32_e32 v27, 0.5, v28
	v_add_f32_e32 v34, v0, v21
	v_sub_f32_e32 v47, v0, v21
	v_add_f32_e32 v0, v10, v8
	v_add_f32_e32 v38, v6, v7
	;; [unrolled: 1-line block ×3, first 2 shown]
	v_sub_f32_e32 v35, v35, v27
	v_fma_f32 v27, -0.5, v0, v13
	v_fma_f32 v41, -0.5, v38, v5
	v_sub_f32_e32 v0, v19, v25
	v_mov_b32_e32 v38, v27
	v_sub_f32_e32 v39, v18, v20
	v_mov_b32_e32 v42, v41
	v_fmac_f32_e32 v38, 0x3f5db3d7, v0
	v_fmac_f32_e32 v27, 0xbf5db3d7, v0
	v_add_f32_e32 v0, v19, v25
	v_fmac_f32_e32 v42, 0x3f5db3d7, v39
	v_fmac_f32_e32 v41, 0xbf5db3d7, v39
	v_fma_f32 v39, -0.5, v0, v16
	v_sub_f32_e32 v0, v10, v8
	v_mov_b32_e32 v40, v39
	v_fmac_f32_e32 v40, 0xbf5db3d7, v0
	v_mov_b32_e32 v49, 2
	v_fmac_f32_e32 v39, 0x3f5db3d7, v0
	v_mul_f32_e32 v43, 0x3f5db3d7, v40
	v_mul_f32_e32 v44, -0.5, v27
	v_mul_u32_u24_e32 v37, 0xf0, v62
	v_lshlrev_b32_sdwa v49, v49, v63 dst_sel:DWORD dst_unused:UNUSED_PAD src0_sel:DWORD src1_sel:BYTE_0
	v_fmac_f32_e32 v43, 0.5, v38
	v_fmac_f32_e32 v44, 0x3f5db3d7, v39
	v_add3_u32 v37, 0, v37, v49
	v_sub_f32_e32 v21, v42, v43
	v_sub_f32_e32 v0, v41, v44
	ds_write2_b32 v37, v45, v48 offset1:10
	ds_write2_b32 v37, v34, v46 offset0:20 offset1:30
	ds_write2_b32 v37, v35, v47 offset0:40 offset1:50
	v_mul_lo_u16_e32 v34, 60, v64
	v_lshlrev_b32_e32 v35, 2, v65
	s_and_saveexec_b64 s[6:7], s[0:1]
	s_cbranch_execz .LBB0_19
; %bb.18:
	v_add_f32_e32 v5, v5, v6
	v_add_f32_e32 v10, v13, v10
	;; [unrolled: 1-line block ×4, first 2 shown]
	v_sub_f32_e32 v10, v5, v8
	v_add_f32_e32 v5, v5, v8
	v_lshlrev_b32_e32 v8, 2, v34
	v_add_f32_e32 v13, v41, v44
	v_add_f32_e32 v41, v42, v43
	v_add3_u32 v8, 0, v35, v8
	ds_write2_b32 v8, v5, v41 offset1:10
	ds_write2_b32 v8, v13, v10 offset0:20 offset1:30
	ds_write2_b32 v8, v21, v0 offset0:40 offset1:50
.LBB0_19:
	s_or_b64 exec, exec, s[6:7]
	v_add_f32_e32 v8, v24, v26
	v_add_f32_e32 v5, v11, v24
	v_fmac_f32_e32 v11, -0.5, v8
	v_sub_f32_e32 v8, v33, v15
	v_mov_b32_e32 v10, v11
	v_fmac_f32_e32 v10, 0xbf5db3d7, v8
	v_fmac_f32_e32 v11, 0x3f5db3d7, v8
	v_add_f32_e32 v8, v12, v22
	v_add_f32_e32 v5, v5, v26
	;; [unrolled: 1-line block ×4, first 2 shown]
	v_sub_f32_e32 v44, v5, v8
	v_add_f32_e32 v5, v18, v20
	v_mul_f32_e32 v12, 0xbf5db3d7, v28
	v_mul_f32_e32 v13, -0.5, v17
	v_fma_f32 v15, -0.5, v5, v9
	v_mul_f32_e32 v39, -0.5, v39
	v_lshl_add_u32 v24, v29, 2, 0
	v_fmac_f32_e32 v12, 0.5, v36
	v_fmac_f32_e32 v13, 0xbf5db3d7, v14
	v_sub_f32_e32 v5, v6, v7
	v_mov_b32_e32 v36, v15
	v_fmac_f32_e32 v39, 0xbf5db3d7, v27
	v_add_u32_e32 v26, 0x500, v24
	v_add_u32_e32 v27, 0xb00, v31
	v_add_u32_e32 v28, 0x1000, v31
	v_add_u32_e32 v33, 0x1600, v31
	v_add_f32_e32 v42, v10, v12
	v_add_f32_e32 v43, v11, v13
	v_sub_f32_e32 v45, v10, v12
	v_sub_f32_e32 v46, v11, v13
	v_fmac_f32_e32 v36, 0xbf5db3d7, v5
	v_fmac_f32_e32 v15, 0x3f5db3d7, v5
	s_waitcnt lgkmcnt(0)
	s_barrier
	ds_read_b32 v14, v31
	ds_read_b32 v17, v32
	ds_read2_b32 v[12:13], v26 offset0:40 offset1:220
	ds_read2_b32 v[10:11], v27 offset0:16 offset1:196
	;; [unrolled: 1-line block ×4, first 2 shown]
	v_mul_f32_e32 v38, 0xbf5db3d7, v38
	v_fmac_f32_e32 v38, 0.5, v40
	v_sub_f32_e32 v23, v36, v38
	v_sub_f32_e32 v22, v15, v39
	s_waitcnt lgkmcnt(0)
	s_barrier
	ds_write2_b32 v37, v41, v42 offset1:10
	ds_write2_b32 v37, v43, v44 offset0:20 offset1:30
	ds_write2_b32 v37, v45, v46 offset0:40 offset1:50
	s_and_saveexec_b64 s[6:7], s[0:1]
	s_cbranch_execz .LBB0_21
; %bb.20:
	v_add_f32_e32 v9, v9, v18
	v_add_f32_e32 v16, v16, v19
	;; [unrolled: 1-line block ×5, first 2 shown]
	v_sub_f32_e32 v9, v9, v16
	v_lshlrev_b32_e32 v16, 2, v34
	v_add_f32_e32 v19, v36, v38
	v_add3_u32 v16, 0, v35, v16
	v_add_f32_e32 v15, v15, v39
	ds_write2_b32 v16, v18, v19 offset1:10
	ds_write2_b32 v16, v15, v9 offset0:20 offset1:30
	ds_write2_b32 v16, v23, v22 offset0:40 offset1:50
.LBB0_21:
	s_or_b64 exec, exec, s[6:7]
	s_movk_i32 s0, 0x89
	v_mul_lo_u16_sdwa v9, v29, s0 dst_sel:DWORD dst_unused:UNUSED_PAD src0_sel:BYTE_0 src1_sel:DWORD
	v_lshrrev_b16_e32 v9, 13, v9
	v_mul_lo_u16_e32 v15, 60, v9
	v_sub_u16_e32 v61, v29, v15
	v_mov_b32_e32 v15, 9
	v_mul_u32_u24_sdwa v15, v61, v15 dst_sel:DWORD dst_unused:UNUSED_PAD src0_sel:BYTE_0 src1_sel:DWORD
	v_lshlrev_b32_e32 v15, 3, v15
	s_waitcnt lgkmcnt(0)
	s_barrier
	global_load_dwordx4 v[37:40], v15, s[8:9] offset:400
	global_load_dwordx4 v[41:44], v15, s[8:9] offset:416
	;; [unrolled: 1-line block ×4, first 2 shown]
	global_load_dwordx2 v[53:54], v15, s[8:9] offset:464
	ds_read_b32 v15, v31
	ds_read_b32 v62, v32
	ds_read2_b32 v[25:26], v26 offset0:40 offset1:220
	ds_read2_b32 v[55:56], v27 offset0:16 offset1:196
	;; [unrolled: 1-line block ×4, first 2 shown]
	s_mov_b32 s1, 0x3f167918
	v_mul_u32_u24_e32 v9, 0x960, v9
	s_mov_b32 s0, 0x3f737871
	s_waitcnt vmcnt(0) lgkmcnt(0)
	s_barrier
	v_mul_f32_e32 v28, v62, v38
	v_mul_f32_e32 v16, v17, v38
	;; [unrolled: 1-line block ×15, first 2 shown]
	v_fma_f32 v17, v17, v37, -v28
	v_fmac_f32_e32 v16, v62, v37
	v_fma_f32 v37, v12, v39, -v38
	v_fma_f32 v38, v10, v43, -v42
	;; [unrolled: 1-line block ×6, first 2 shown]
	v_mul_f32_e32 v28, v60, v54
	v_fma_f32 v12, v13, v41, -v40
	v_add_f32_e32 v13, v38, v7
	v_add_f32_e32 v40, v37, v8
	v_mul_f32_e32 v36, v5, v52
	v_mul_f32_e32 v33, v6, v54
	v_fmac_f32_e32 v34, v55, v43
	v_fmac_f32_e32 v35, v57, v47
	v_fma_f32 v5, v6, v53, -v28
	v_add_f32_e32 v6, v14, v37
	v_fma_f32 v13, -0.5, v13, v14
	v_fmac_f32_e32 v14, -0.5, v40
	v_fmac_f32_e32 v27, v25, v39
	v_fmac_f32_e32 v18, v26, v41
	v_fmac_f32_e32 v36, v59, v51
	v_sub_f32_e32 v26, v34, v35
	v_add_f32_e32 v6, v6, v38
	v_mov_b32_e32 v46, v14
	v_fmac_f32_e32 v19, v56, v45
	v_sub_f32_e32 v25, v27, v36
	v_sub_f32_e32 v28, v37, v38
	;; [unrolled: 1-line block ×5, first 2 shown]
	v_add_f32_e32 v43, v17, v12
	v_add_f32_e32 v44, v10, v11
	v_add_f32_e32 v6, v6, v7
	v_mov_b32_e32 v45, v13
	v_fmac_f32_e32 v14, 0x3f737871, v26
	v_fmac_f32_e32 v46, 0xbf737871, v26
	;; [unrolled: 1-line block ×3, first 2 shown]
	v_add_f32_e32 v28, v28, v39
	v_add_f32_e32 v39, v41, v42
	;; [unrolled: 1-line block ×3, first 2 shown]
	v_fmac_f32_e32 v13, 0xbf737871, v25
	v_add_f32_e32 v47, v6, v8
	v_fmac_f32_e32 v45, 0x3f737871, v25
	v_fmac_f32_e32 v14, 0xbf167918, v25
	v_fmac_f32_e32 v46, 0x3f167918, v25
	v_fma_f32 v6, -0.5, v44, v17
	v_fmac_f32_e32 v20, v58, v49
	v_add_f32_e32 v40, v40, v11
	v_fmac_f32_e32 v13, 0xbf167918, v26
	v_fmac_f32_e32 v45, 0x3f167918, v26
	;; [unrolled: 1-line block ×4, first 2 shown]
	v_sub_f32_e32 v25, v18, v33
	v_mov_b32_e32 v39, v6
	v_add_f32_e32 v48, v40, v5
	v_fmac_f32_e32 v13, 0x3e9e377a, v28
	v_fmac_f32_e32 v45, 0x3e9e377a, v28
	;; [unrolled: 1-line block ×3, first 2 shown]
	v_sub_f32_e32 v26, v19, v20
	v_sub_f32_e32 v28, v12, v10
	;; [unrolled: 1-line block ×3, first 2 shown]
	v_fmac_f32_e32 v6, 0xbf737871, v25
	v_fmac_f32_e32 v39, 0x3f167918, v26
	v_add_f32_e32 v28, v28, v40
	v_fmac_f32_e32 v6, 0xbf167918, v26
	v_fmac_f32_e32 v39, 0x3e9e377a, v28
	;; [unrolled: 1-line block ×3, first 2 shown]
	v_add_f32_e32 v28, v12, v5
	v_fmac_f32_e32 v17, -0.5, v28
	v_mov_b32_e32 v40, v17
	v_fmac_f32_e32 v40, 0xbf737871, v26
	v_fmac_f32_e32 v17, 0x3f737871, v26
	;; [unrolled: 1-line block ×3, first 2 shown]
	v_sub_f32_e32 v28, v10, v12
	v_sub_f32_e32 v41, v11, v5
	v_fmac_f32_e32 v17, 0xbf167918, v25
	v_add_f32_e32 v25, v19, v20
	v_add_f32_e32 v28, v28, v41
	v_fma_f32 v41, -0.5, v25, v16
	v_sub_f32_e32 v5, v12, v5
	v_mov_b32_e32 v42, v41
	v_fmac_f32_e32 v42, 0xbf737871, v5
	v_sub_f32_e32 v10, v10, v11
	v_sub_f32_e32 v11, v18, v19
	;; [unrolled: 1-line block ×3, first 2 shown]
	v_fmac_f32_e32 v41, 0x3f737871, v5
	v_fmac_f32_e32 v42, 0xbf167918, v10
	v_add_f32_e32 v11, v11, v12
	v_fmac_f32_e32 v41, 0x3f167918, v10
	v_fmac_f32_e32 v42, 0x3e9e377a, v11
	v_fmac_f32_e32 v41, 0x3e9e377a, v11
	v_add_f32_e32 v11, v18, v33
	v_fma_f32 v43, -0.5, v11, v16
	v_mov_b32_e32 v44, v43
	v_fmac_f32_e32 v44, 0x3f737871, v10
	v_fmac_f32_e32 v43, 0xbf737871, v10
	;; [unrolled: 1-line block ×3, first 2 shown]
	v_sub_f32_e32 v11, v19, v18
	v_sub_f32_e32 v12, v20, v33
	v_fmac_f32_e32 v43, 0x3f167918, v5
	v_mul_f32_e32 v5, 0x3f167918, v42
	v_mul_f32_e32 v49, 0x3f4f1bbd, v6
	v_add_f32_e32 v11, v11, v12
	v_fmac_f32_e32 v5, 0x3f4f1bbd, v39
	v_fma_f32 v49, v41, s1, -v49
	v_fmac_f32_e32 v44, 0x3e9e377a, v11
	v_fmac_f32_e32 v43, 0x3e9e377a, v11
	v_add_f32_e32 v10, v47, v48
	v_add_f32_e32 v11, v45, v5
	;; [unrolled: 1-line block ×3, first 2 shown]
	v_sub_f32_e32 v47, v47, v48
	v_sub_f32_e32 v48, v45, v5
	;; [unrolled: 1-line block ×3, first 2 shown]
	v_mov_b32_e32 v13, 2
	v_fmac_f32_e32 v40, 0x3e9e377a, v28
	v_fmac_f32_e32 v17, 0x3e9e377a, v28
	v_mul_f32_e32 v12, 0x3f737871, v44
	v_lshlrev_b32_sdwa v13, v13, v61 dst_sel:DWORD dst_unused:UNUSED_PAD src0_sel:DWORD src1_sel:BYTE_0
	v_fmac_f32_e32 v12, 0x3e9e377a, v40
	v_mul_f32_e32 v26, 0x3e9e377a, v17
	v_add3_u32 v45, 0, v9, v13
	v_add_f32_e32 v25, v46, v12
	v_fma_f32 v26, v43, s0, -v26
	v_sub_f32_e32 v12, v46, v12
	v_add_u32_e32 v46, 0x200, v45
	v_add_f32_e32 v28, v14, v26
	ds_write2_b32 v45, v10, v11 offset1:60
	ds_write2_b32 v45, v25, v28 offset0:120 offset1:180
	ds_write2_b32 v46, v50, v47 offset0:112 offset1:172
	v_add_u32_e32 v47, 0x400, v45
	v_sub_f32_e32 v14, v14, v26
	ds_write2_b32 v47, v48, v12 offset0:104 offset1:164
	v_add_u32_e32 v48, 0x600, v45
	v_add_u32_e32 v49, 0x900, v31
	;; [unrolled: 1-line block ×4, first 2 shown]
	ds_write2_b32 v48, v14, v5 offset0:96 offset1:156
	s_waitcnt lgkmcnt(0)
	s_barrier
	ds_read2_b32 v[11:12], v49 offset0:24 offset1:204
	ds_read2_b32 v[9:10], v50 offset1:240
	ds_read2_b32 v[13:14], v51 offset0:36 offset1:216
	ds_read_b32 v26, v32
	ds_read_b32 v25, v31
	ds_read_b32 v28, v24 offset:1440
	v_cmp_gt_u32_e64 s[0:1], 60, v29
	s_and_saveexec_b64 s[6:7], s[0:1]
	s_cbranch_execz .LBB0_23
; %bb.22:
	ds_read_b32 v5, v24 offset:2160
	ds_read_b32 v21, v31 offset:4560
	;; [unrolled: 1-line block ×3, first 2 shown]
.LBB0_23:
	s_or_b64 exec, exec, s[6:7]
	v_add_f32_e32 v53, v34, v35
	v_fma_f32 v53, -0.5, v53, v15
	v_sub_f32_e32 v8, v37, v8
	v_mov_b32_e32 v37, v53
	v_fmac_f32_e32 v37, 0xbf737871, v8
	v_sub_f32_e32 v7, v38, v7
	v_sub_f32_e32 v38, v27, v34
	;; [unrolled: 1-line block ×3, first 2 shown]
	v_fmac_f32_e32 v53, 0x3f737871, v8
	v_fmac_f32_e32 v37, 0xbf167918, v7
	v_add_f32_e32 v38, v38, v54
	v_fmac_f32_e32 v53, 0x3f167918, v7
	v_fmac_f32_e32 v37, 0x3e9e377a, v38
	v_fmac_f32_e32 v53, 0x3e9e377a, v38
	v_add_f32_e32 v38, v27, v36
	v_add_f32_e32 v52, v15, v27
	v_fmac_f32_e32 v15, -0.5, v38
	v_mov_b32_e32 v38, v15
	v_fmac_f32_e32 v38, 0x3f737871, v7
	v_fmac_f32_e32 v15, 0xbf737871, v7
	v_add_f32_e32 v7, v16, v18
	v_add_f32_e32 v52, v52, v34
	v_sub_f32_e32 v27, v34, v27
	v_sub_f32_e32 v34, v35, v36
	v_add_f32_e32 v7, v7, v19
	v_fmac_f32_e32 v38, 0xbf167918, v8
	v_add_f32_e32 v27, v27, v34
	v_fmac_f32_e32 v15, 0x3f167918, v8
	v_add_f32_e32 v7, v7, v20
	v_add_f32_e32 v52, v52, v35
	v_fmac_f32_e32 v38, 0x3e9e377a, v27
	v_fmac_f32_e32 v15, 0x3e9e377a, v27
	v_add_f32_e32 v7, v7, v33
	v_mul_f32_e32 v16, 0xbf167918, v39
	v_mul_f32_e32 v19, 0xbf737871, v40
	;; [unrolled: 1-line block ×4, first 2 shown]
	v_add_f32_e32 v52, v52, v36
	v_fmac_f32_e32 v16, 0x3f4f1bbd, v42
	v_fmac_f32_e32 v19, 0x3e9e377a, v44
	v_fma_f32 v17, v17, s11, -v27
	v_fma_f32 v6, v6, s10, -v33
	v_add_f32_e32 v8, v52, v7
	v_add_f32_e32 v18, v37, v16
	;; [unrolled: 1-line block ×5, first 2 shown]
	v_sub_f32_e32 v16, v37, v16
	v_sub_f32_e32 v19, v38, v19
	;; [unrolled: 1-line block ×5, first 2 shown]
	s_waitcnt lgkmcnt(0)
	s_barrier
	ds_write2_b32 v45, v8, v18 offset1:60
	ds_write2_b32 v45, v20, v27 offset0:120 offset1:180
	ds_write2_b32 v46, v33, v7 offset0:112 offset1:172
	;; [unrolled: 1-line block ×4, first 2 shown]
	s_waitcnt lgkmcnt(0)
	s_barrier
	ds_read2_b32 v[17:18], v49 offset0:24 offset1:204
	ds_read2_b32 v[15:16], v50 offset1:240
	ds_read_b32 v32, v32
	ds_read2_b32 v[19:20], v51 offset0:36 offset1:216
	ds_read_b32 v27, v31
	ds_read_b32 v33, v24 offset:1440
	s_and_saveexec_b64 s[6:7], s[0:1]
	s_cbranch_execz .LBB0_25
; %bb.24:
	ds_read_b32 v6, v24 offset:2160
	ds_read_b32 v23, v31 offset:4560
	ds_read_b32 v22, v31 offset:6960
.LBB0_25:
	s_or_b64 exec, exec, s[6:7]
	s_and_saveexec_b64 s[6:7], vcc
	s_cbranch_execz .LBB0_28
; %bb.26:
	v_lshlrev_b32_e32 v38, 1, v29
	v_add_u32_e32 v7, 0x2d0, v38
	v_mov_b32_e32 v8, 0
	v_lshlrev_b64 v[34:35], 3, v[7:8]
	v_mov_b32_e32 v24, s9
	v_add_co_u32_e32 v7, vcc, s8, v34
	v_addc_co_u32_e32 v31, vcc, v24, v35, vcc
	v_add_co_u32_e32 v34, vcc, 0x1000, v7
	v_lshlrev_b32_e32 v7, 1, v30
	v_addc_co_u32_e32 v35, vcc, 0, v31, vcc
	v_lshlrev_b64 v[30:31], 3, v[7:8]
	v_mov_b32_e32 v39, v8
	v_add_co_u32_e32 v7, vcc, s8, v30
	v_addc_co_u32_e32 v42, vcc, v24, v31, vcc
	v_lshlrev_b64 v[30:31], 3, v[38:39]
	s_movk_i32 s6, 0x1000
	v_add_co_u32_e32 v30, vcc, s8, v30
	v_addc_co_u32_e32 v24, vcc, v24, v31, vcc
	v_add_co_u32_e32 v30, vcc, s6, v30
	v_addc_co_u32_e32 v31, vcc, 0, v24, vcc
	global_load_dwordx4 v[34:37], v[34:35], off offset:624
	v_mul_lo_u32 v24, s4, v4
	global_load_dwordx4 v[38:41], v[30:31], off offset:624
	v_add_co_u32_e32 v30, vcc, s6, v7
	v_addc_co_u32_e32 v31, vcc, 0, v42, vcc
	global_load_dwordx4 v[42:45], v[30:31], off offset:624
	v_mul_lo_u32 v7, s5, v3
	v_mad_u64_u32 v[3:4], s[4:5], s4, v3, 0
	s_mov_b32 s6, 0x1b4e81b5
	v_lshlrev_b64 v[1:2], 3, v[1:2]
	v_add3_u32 v4, v4, v24, v7
	v_lshlrev_b64 v[3:4], 3, v[3:4]
	s_movk_i32 s10, 0x708
	s_movk_i32 s7, 0x258
	s_waitcnt vmcnt(2) lgkmcnt(4)
	v_mul_f32_e32 v24, v15, v35
	v_mul_f32_e32 v31, v9, v35
	;; [unrolled: 1-line block ×3, first 2 shown]
	v_fmac_f32_e32 v31, v15, v34
	s_waitcnt lgkmcnt(2)
	v_fmac_f32_e32 v35, v20, v36
	s_waitcnt vmcnt(1)
	v_mul_f32_e32 v7, v17, v39
	v_mul_f32_e32 v30, v20, v37
	s_waitcnt vmcnt(0)
	v_mul_f32_e32 v46, v19, v45
	v_mul_f32_e32 v45, v13, v45
	v_fma_f32 v20, v13, v44, -v46
	v_add_f32_e32 v13, v31, v35
	v_fma_f32 v47, v11, v38, -v7
	v_fma_f32 v7, v9, v34, -v24
	;; [unrolled: 1-line block ×3, first 2 shown]
	s_waitcnt lgkmcnt(0)
	v_fma_f32 v13, -0.5, v13, v33
	v_sub_f32_e32 v24, v7, v9
	v_add_f32_e32 v14, v33, v31
	v_mov_b32_e32 v33, v13
	v_mul_f32_e32 v37, v18, v43
	v_mul_f32_e32 v43, v12, v43
	v_fmac_f32_e32 v13, 0xbf5db3d7, v24
	v_fmac_f32_e32 v33, 0x3f5db3d7, v24
	v_mul_f32_e32 v11, v11, v39
	v_mul_f32_e32 v24, v10, v41
	v_fma_f32 v12, v12, v42, -v37
	v_fmac_f32_e32 v43, v18, v42
	v_fmac_f32_e32 v45, v19, v44
	v_add_f32_e32 v18, v7, v9
	v_add_f32_e32 v7, v28, v7
	v_fmac_f32_e32 v11, v17, v38
	v_fmac_f32_e32 v24, v16, v40
	v_add_f32_e32 v19, v43, v45
	v_add_f32_e32 v30, v32, v43
	v_sub_f32_e32 v42, v43, v45
	v_add_f32_e32 v43, v26, v12
	v_add_f32_e32 v15, v14, v35
	;; [unrolled: 1-line block ×3, first 2 shown]
	v_mul_f32_e32 v7, v16, v41
	v_add_f32_e32 v9, v11, v24
	v_sub_f32_e32 v36, v31, v35
	v_sub_f32_e32 v37, v12, v20
	v_add_f32_e32 v34, v12, v20
	v_add_f32_e32 v31, v30, v45
	;; [unrolled: 1-line block ×3, first 2 shown]
	v_fma_f32 v20, v10, v40, -v7
	v_fma_f32 v10, -0.5, v9, v27
	v_sub_f32_e32 v7, v47, v20
	v_mov_b32_e32 v17, v10
	v_fmac_f32_e32 v17, 0x3f5db3d7, v7
	v_fmac_f32_e32 v10, 0xbf5db3d7, v7
	v_add_f32_e32 v7, v27, v11
	v_fma_f32 v12, -0.5, v18, v28
	v_fma_f32 v18, -0.5, v34, v26
	v_add_f32_e32 v26, v7, v24
	v_mul_hi_u32 v7, v29, s6
	v_sub_f32_e32 v11, v11, v24
	v_fma_f32 v19, -0.5, v19, v32
	v_mov_b32_e32 v32, v12
	v_lshrrev_b32_e32 v7, 6, v7
	v_mul_u32_u24_e32 v7, 0x258, v7
	v_sub_u32_e32 v24, v29, v7
	v_mad_u64_u32 v[27:28], s[4:5], s2, v24, 0
	v_mov_b32_e32 v35, v19
	v_fmac_f32_e32 v12, 0x3f5db3d7, v36
	v_mov_b32_e32 v7, v28
	v_fmac_f32_e32 v19, 0xbf5db3d7, v37
	v_fmac_f32_e32 v32, 0xbf5db3d7, v36
	;; [unrolled: 1-line block ×3, first 2 shown]
	v_add_f32_e32 v9, v47, v20
	v_mad_u64_u32 v[36:37], s[4:5], s3, v24, v[7:8]
	v_fma_f32 v9, -0.5, v9, v25
	v_mov_b32_e32 v16, v9
	v_add_f32_e32 v7, v25, v47
	v_fmac_f32_e32 v16, 0xbf5db3d7, v11
	v_fmac_f32_e32 v9, 0x3f5db3d7, v11
	v_add_f32_e32 v25, v7, v20
	v_mov_b32_e32 v7, s15
	v_add_co_u32_e32 v11, vcc, s14, v3
	v_mov_b32_e32 v28, v36
	v_addc_co_u32_e32 v7, vcc, v7, v4, vcc
	v_add_u32_e32 v20, 0x258, v24
	v_add_co_u32_e32 v1, vcc, v11, v1
	v_lshlrev_b64 v[27:28], 3, v[27:28]
	v_mad_u64_u32 v[3:4], s[4:5], s2, v20, 0
	v_addc_co_u32_e32 v2, vcc, v7, v2, vcc
	v_add_co_u32_e32 v27, vcc, v1, v27
	v_addc_co_u32_e32 v28, vcc, v2, v28, vcc
	v_add_u32_e32 v11, 0x4b0, v24
	global_store_dwordx2 v[27:28], v[25:26], off
	v_mad_u64_u32 v[24:25], s[4:5], s2, v11, 0
	v_mad_u64_u32 v[36:37], s[4:5], s3, v20, v[4:5]
	v_mov_b32_e32 v7, v25
	v_mad_u64_u32 v[25:26], s[4:5], s3, v11, v[7:8]
	v_mov_b32_e32 v4, v36
	v_add_u32_e32 v7, 0xb4, v29
	v_lshlrev_b64 v[3:4], 3, v[3:4]
	v_mul_hi_u32 v11, v7, s6
	v_add_co_u32_e32 v3, vcc, v1, v3
	v_addc_co_u32_e32 v4, vcc, v2, v4, vcc
	global_store_dwordx2 v[3:4], v[9:10], off
	v_lshrrev_b32_e32 v9, 6, v11
	v_mul_u32_u24_e32 v10, 0x258, v9
	v_sub_u32_e32 v7, v7, v10
	v_mad_u32_u24 v20, v9, s10, v7
	v_mad_u64_u32 v[9:10], s[4:5], s2, v20, 0
	v_lshlrev_b64 v[3:4], 3, v[24:25]
	v_mov_b32_e32 v34, v18
	v_mov_b32_e32 v7, v10
	v_mad_u64_u32 v[10:11], s[4:5], s3, v20, v[7:8]
	v_add_u32_e32 v11, 0x258, v20
	v_mad_u64_u32 v[24:25], s[4:5], s2, v11, 0
	v_add_co_u32_e32 v3, vcc, v1, v3
	v_addc_co_u32_e32 v4, vcc, v2, v4, vcc
	v_mov_b32_e32 v7, v25
	global_store_dwordx2 v[3:4], v[16:17], off
	v_lshlrev_b64 v[3:4], 3, v[9:10]
	v_mad_u64_u32 v[9:10], s[4:5], s3, v11, v[7:8]
	v_add_u32_e32 v11, 0x4b0, v20
	v_add_u32_e32 v16, 0x168, v29
	v_mov_b32_e32 v25, v9
	v_mad_u64_u32 v[9:10], s[4:5], s2, v11, 0
	v_mul_hi_u32 v17, v16, s6
	v_add_co_u32_e32 v3, vcc, v1, v3
	v_mov_b32_e32 v7, v10
	v_mad_u64_u32 v[10:11], s[4:5], s3, v11, v[7:8]
	v_lshrrev_b32_e32 v7, 6, v17
	v_mul_u32_u24_e32 v11, 0x258, v7
	v_sub_u32_e32 v11, v16, v11
	v_mad_u32_u24 v20, v7, s10, v11
	v_addc_co_u32_e32 v4, vcc, v2, v4, vcc
	v_mad_u64_u32 v[16:17], s[4:5], s2, v20, 0
	global_store_dwordx2 v[3:4], v[30:31], off
	v_lshlrev_b64 v[3:4], 3, v[24:25]
	v_fmac_f32_e32 v18, 0x3f5db3d7, v42
	v_add_co_u32_e32 v3, vcc, v1, v3
	v_addc_co_u32_e32 v4, vcc, v2, v4, vcc
	v_mov_b32_e32 v7, v17
	global_store_dwordx2 v[3:4], v[18:19], off
	v_lshlrev_b64 v[3:4], 3, v[9:10]
	v_mad_u64_u32 v[9:10], s[4:5], s3, v20, v[7:8]
	v_add_u32_e32 v11, 0x258, v20
	v_add_co_u32_e32 v3, vcc, v1, v3
	v_mov_b32_e32 v17, v9
	v_mad_u64_u32 v[9:10], s[4:5], s2, v11, 0
	v_fmac_f32_e32 v34, 0xbf5db3d7, v42
	v_addc_co_u32_e32 v4, vcc, v2, v4, vcc
	v_mov_b32_e32 v7, v10
	v_mad_u64_u32 v[10:11], s[4:5], s3, v11, v[7:8]
	v_add_u32_e32 v11, 0x4b0, v20
	global_store_dwordx2 v[3:4], v[34:35], off
	v_lshlrev_b64 v[3:4], 3, v[16:17]
	v_mad_u64_u32 v[16:17], s[4:5], s2, v11, 0
	v_add_co_u32_e32 v3, vcc, v1, v3
	v_addc_co_u32_e32 v4, vcc, v2, v4, vcc
	v_mov_b32_e32 v7, v17
	global_store_dwordx2 v[3:4], v[14:15], off
	v_lshlrev_b64 v[3:4], 3, v[9:10]
	v_mad_u64_u32 v[9:10], s[4:5], s3, v11, v[7:8]
	v_add_co_u32_e32 v3, vcc, v1, v3
	v_addc_co_u32_e32 v4, vcc, v2, v4, vcc
	v_mov_b32_e32 v17, v9
	global_store_dwordx2 v[3:4], v[12:13], off
	v_lshlrev_b64 v[3:4], 3, v[16:17]
	v_add_co_u32_e32 v3, vcc, v1, v3
	v_addc_co_u32_e32 v4, vcc, v2, v4, vcc
	global_store_dwordx2 v[3:4], v[32:33], off
	v_add_u32_e32 v3, 0x21c, v29
	v_cmp_gt_u32_e32 vcc, s7, v3
	s_and_b64 exec, exec, vcc
	s_cbranch_execz .LBB0_28
; %bb.27:
	v_not_b32_e32 v4, 59
	v_mov_b32_e32 v7, 0x21c
	v_cndmask_b32_e64 v4, v4, v7, s[0:1]
	v_add_lshl_u32 v7, v29, v4, 1
	v_lshlrev_b64 v[7:8], 3, v[7:8]
	v_mov_b32_e32 v4, s9
	v_add_co_u32_e32 v7, vcc, s8, v7
	v_addc_co_u32_e32 v4, vcc, v4, v8, vcc
	v_add_co_u32_e32 v7, vcc, 0x1000, v7
	v_addc_co_u32_e32 v8, vcc, 0, v4, vcc
	global_load_dwordx4 v[7:10], v[7:8], off offset:624
	v_mad_u64_u32 v[11:12], s[0:1], s2, v3, 0
	v_add_u32_e32 v17, 0x474, v29
	v_add_u32_e32 v18, 0x6cc, v29
	v_mad_u64_u32 v[13:14], s[0:1], s2, v17, 0
	v_mad_u64_u32 v[15:16], s[0:1], s2, v18, 0
	v_mov_b32_e32 v4, v12
	v_mad_u64_u32 v[3:4], s[0:1], s3, v3, v[4:5]
	v_mov_b32_e32 v4, v14
	v_mov_b32_e32 v12, v16
	v_mad_u64_u32 v[16:17], s[0:1], s3, v17, v[4:5]
	v_mad_u64_u32 v[17:18], s[0:1], s3, v18, v[12:13]
	v_mov_b32_e32 v12, v3
	v_lshlrev_b64 v[3:4], 3, v[11:12]
	v_mov_b32_e32 v14, v16
	v_lshlrev_b64 v[11:12], 3, v[13:14]
	v_add_co_u32_e32 v3, vcc, v1, v3
	v_mov_b32_e32 v16, v17
	v_addc_co_u32_e32 v4, vcc, v2, v4, vcc
	v_lshlrev_b64 v[13:14], 3, v[15:16]
	v_add_co_u32_e32 v11, vcc, v1, v11
	v_addc_co_u32_e32 v12, vcc, v2, v12, vcc
	v_add_co_u32_e32 v1, vcc, v1, v13
	v_addc_co_u32_e32 v2, vcc, v2, v14, vcc
	s_waitcnt vmcnt(0)
	v_mul_f32_e32 v13, v23, v8
	v_mul_f32_e32 v8, v21, v8
	;; [unrolled: 1-line block ×4, first 2 shown]
	v_fma_f32 v13, v21, v7, -v13
	v_fmac_f32_e32 v8, v23, v7
	v_fma_f32 v0, v0, v9, -v14
	v_fmac_f32_e32 v10, v22, v9
	v_add_f32_e32 v9, v13, v0
	v_add_f32_e32 v16, v8, v10
	;; [unrolled: 1-line block ×4, first 2 shown]
	v_fmac_f32_e32 v5, -0.5, v9
	v_fmac_f32_e32 v6, -0.5, v16
	v_sub_f32_e32 v14, v8, v10
	v_sub_f32_e32 v13, v13, v0
	v_add_f32_e32 v8, v15, v10
	v_mov_b32_e32 v9, v5
	v_mov_b32_e32 v10, v6
	v_add_f32_e32 v7, v7, v0
	v_fmac_f32_e32 v9, 0x3f5db3d7, v14
	v_fmac_f32_e32 v10, 0xbf5db3d7, v13
	;; [unrolled: 1-line block ×4, first 2 shown]
	global_store_dwordx2 v[3:4], v[7:8], off
	global_store_dwordx2 v[11:12], v[9:10], off
	;; [unrolled: 1-line block ×3, first 2 shown]
.LBB0_28:
	s_endpgm
	.section	.rodata,"a",@progbits
	.p2align	6, 0x0
	.amdhsa_kernel fft_rtc_fwd_len1800_factors_10_6_10_3_wgs_180_tpt_180_halfLds_sp_op_CI_CI_sbrr_dirReg
		.amdhsa_group_segment_fixed_size 0
		.amdhsa_private_segment_fixed_size 0
		.amdhsa_kernarg_size 104
		.amdhsa_user_sgpr_count 6
		.amdhsa_user_sgpr_private_segment_buffer 1
		.amdhsa_user_sgpr_dispatch_ptr 0
		.amdhsa_user_sgpr_queue_ptr 0
		.amdhsa_user_sgpr_kernarg_segment_ptr 1
		.amdhsa_user_sgpr_dispatch_id 0
		.amdhsa_user_sgpr_flat_scratch_init 0
		.amdhsa_user_sgpr_private_segment_size 0
		.amdhsa_uses_dynamic_stack 0
		.amdhsa_system_sgpr_private_segment_wavefront_offset 0
		.amdhsa_system_sgpr_workgroup_id_x 1
		.amdhsa_system_sgpr_workgroup_id_y 0
		.amdhsa_system_sgpr_workgroup_id_z 0
		.amdhsa_system_sgpr_workgroup_info 0
		.amdhsa_system_vgpr_workitem_id 0
		.amdhsa_next_free_vgpr 66
		.amdhsa_next_free_sgpr 32
		.amdhsa_reserve_vcc 1
		.amdhsa_reserve_flat_scratch 0
		.amdhsa_float_round_mode_32 0
		.amdhsa_float_round_mode_16_64 0
		.amdhsa_float_denorm_mode_32 3
		.amdhsa_float_denorm_mode_16_64 3
		.amdhsa_dx10_clamp 1
		.amdhsa_ieee_mode 1
		.amdhsa_fp16_overflow 0
		.amdhsa_exception_fp_ieee_invalid_op 0
		.amdhsa_exception_fp_denorm_src 0
		.amdhsa_exception_fp_ieee_div_zero 0
		.amdhsa_exception_fp_ieee_overflow 0
		.amdhsa_exception_fp_ieee_underflow 0
		.amdhsa_exception_fp_ieee_inexact 0
		.amdhsa_exception_int_div_zero 0
	.end_amdhsa_kernel
	.text
.Lfunc_end0:
	.size	fft_rtc_fwd_len1800_factors_10_6_10_3_wgs_180_tpt_180_halfLds_sp_op_CI_CI_sbrr_dirReg, .Lfunc_end0-fft_rtc_fwd_len1800_factors_10_6_10_3_wgs_180_tpt_180_halfLds_sp_op_CI_CI_sbrr_dirReg
                                        ; -- End function
	.section	.AMDGPU.csdata,"",@progbits
; Kernel info:
; codeLenInByte = 7556
; NumSgprs: 36
; NumVgprs: 66
; ScratchSize: 0
; MemoryBound: 0
; FloatMode: 240
; IeeeMode: 1
; LDSByteSize: 0 bytes/workgroup (compile time only)
; SGPRBlocks: 4
; VGPRBlocks: 16
; NumSGPRsForWavesPerEU: 36
; NumVGPRsForWavesPerEU: 66
; Occupancy: 3
; WaveLimiterHint : 1
; COMPUTE_PGM_RSRC2:SCRATCH_EN: 0
; COMPUTE_PGM_RSRC2:USER_SGPR: 6
; COMPUTE_PGM_RSRC2:TRAP_HANDLER: 0
; COMPUTE_PGM_RSRC2:TGID_X_EN: 1
; COMPUTE_PGM_RSRC2:TGID_Y_EN: 0
; COMPUTE_PGM_RSRC2:TGID_Z_EN: 0
; COMPUTE_PGM_RSRC2:TIDIG_COMP_CNT: 0
	.type	__hip_cuid_a1aa6e4fbbb37047,@object ; @__hip_cuid_a1aa6e4fbbb37047
	.section	.bss,"aw",@nobits
	.globl	__hip_cuid_a1aa6e4fbbb37047
__hip_cuid_a1aa6e4fbbb37047:
	.byte	0                               ; 0x0
	.size	__hip_cuid_a1aa6e4fbbb37047, 1

	.ident	"AMD clang version 19.0.0git (https://github.com/RadeonOpenCompute/llvm-project roc-6.4.0 25133 c7fe45cf4b819c5991fe208aaa96edf142730f1d)"
	.section	".note.GNU-stack","",@progbits
	.addrsig
	.addrsig_sym __hip_cuid_a1aa6e4fbbb37047
	.amdgpu_metadata
---
amdhsa.kernels:
  - .args:
      - .actual_access:  read_only
        .address_space:  global
        .offset:         0
        .size:           8
        .value_kind:     global_buffer
      - .offset:         8
        .size:           8
        .value_kind:     by_value
      - .actual_access:  read_only
        .address_space:  global
        .offset:         16
        .size:           8
        .value_kind:     global_buffer
      - .actual_access:  read_only
        .address_space:  global
        .offset:         24
        .size:           8
        .value_kind:     global_buffer
      - .actual_access:  read_only
        .address_space:  global
        .offset:         32
        .size:           8
        .value_kind:     global_buffer
      - .offset:         40
        .size:           8
        .value_kind:     by_value
      - .actual_access:  read_only
        .address_space:  global
        .offset:         48
        .size:           8
        .value_kind:     global_buffer
      - .actual_access:  read_only
        .address_space:  global
        .offset:         56
        .size:           8
        .value_kind:     global_buffer
      - .offset:         64
        .size:           4
        .value_kind:     by_value
      - .actual_access:  read_only
        .address_space:  global
        .offset:         72
        .size:           8
        .value_kind:     global_buffer
      - .actual_access:  read_only
        .address_space:  global
        .offset:         80
        .size:           8
        .value_kind:     global_buffer
      - .actual_access:  read_only
        .address_space:  global
        .offset:         88
        .size:           8
        .value_kind:     global_buffer
      - .actual_access:  write_only
        .address_space:  global
        .offset:         96
        .size:           8
        .value_kind:     global_buffer
    .group_segment_fixed_size: 0
    .kernarg_segment_align: 8
    .kernarg_segment_size: 104
    .language:       OpenCL C
    .language_version:
      - 2
      - 0
    .max_flat_workgroup_size: 180
    .name:           fft_rtc_fwd_len1800_factors_10_6_10_3_wgs_180_tpt_180_halfLds_sp_op_CI_CI_sbrr_dirReg
    .private_segment_fixed_size: 0
    .sgpr_count:     36
    .sgpr_spill_count: 0
    .symbol:         fft_rtc_fwd_len1800_factors_10_6_10_3_wgs_180_tpt_180_halfLds_sp_op_CI_CI_sbrr_dirReg.kd
    .uniform_work_group_size: 1
    .uses_dynamic_stack: false
    .vgpr_count:     66
    .vgpr_spill_count: 0
    .wavefront_size: 64
amdhsa.target:   amdgcn-amd-amdhsa--gfx906
amdhsa.version:
  - 1
  - 2
...

	.end_amdgpu_metadata
